;; amdgpu-corpus repo=ROCm/rocm-examples kind=compiled arch=gfx1250 opt=O3
	.amdgcn_target "amdgcn-amd-amdhsa--gfx1250"
	.amdhsa_code_object_version 6
	.section	.text._Z15JacobiIterationILi32ELi6EEvPKfS1_S1_S1_S1_iiifPfS2_,"axG",@progbits,_Z15JacobiIterationILi32ELi6EEvPKfS1_S1_S1_S1_iiifPfS2_,comdat
	.protected	_Z15JacobiIterationILi32ELi6EEvPKfS1_S1_S1_S1_iiifPfS2_ ; -- Begin function _Z15JacobiIterationILi32ELi6EEvPKfS1_S1_S1_S1_iiifPfS2_
	.globl	_Z15JacobiIterationILi32ELi6EEvPKfS1_S1_S1_S1_iiifPfS2_
	.p2align	8
	.type	_Z15JacobiIterationILi32ELi6EEvPKfS1_S1_S1_S1_iiifPfS2_,@function
_Z15JacobiIterationILi32ELi6EEvPKfS1_S1_S1_S1_iiifPfS2_: ; @_Z15JacobiIterationILi32ELi6EEvPKfS1_S1_S1_S1_iiifPfS2_
; %bb.0:
	s_clause 0x1
	s_load_b32 s2, s[0:1], 0x54
	s_load_b128 s[12:15], s[0:1], 0x28
	s_bfe_u32 s4, ttmp6, 0x4000c
	s_bfe_u32 s5, ttmp6, 0x40010
	v_bfe_u32 v9, v0, 10, 10
	s_add_co_i32 s4, s4, 1
	s_add_co_i32 s5, s5, 1
	s_and_b32 s3, ttmp6, 15
	s_bfe_u32 s6, ttmp6, 0x40004
	s_mul_i32 s4, ttmp9, s4
	s_mul_i32 s5, ttmp7, s5
	s_getreg_b32 s7, hwreg(HW_REG_IB_STS2, 6, 4)
	v_and_b32_e32 v6, 0x3ff, v0
	s_add_co_i32 s3, s3, s4
	s_add_co_i32 s6, s6, s5
	v_mul_u32_u24_e32 v2, 34, v9
	s_mov_b64 s[16:17], src_shared_base
	s_mov_b32 s21, 0
	v_mov_b32_e32 v11, s17
	s_load_b64 s[16:17], s[0:1], 0x20
	s_wait_kmcnt 0x0
	s_lshr_b32 s4, s2, 16
	s_and_b32 s2, s2, 0xffff
	s_cmp_eq_u32 s7, 0
	v_add_lshl_u32 v3, v2, v6, 2
	s_cselect_b32 s19, ttmp9, s3
	s_cselect_b32 s3, ttmp7, s6
	s_mul_i32 s19, s19, s2
	s_mul_i32 s2, s3, s4
	s_delay_alu instid0(SALU_CYCLE_1)
	v_dual_add_nc_u32 v4, s19, v6 :: v_dual_add_nc_u32 v5, s2, v9
	s_load_b256 s[4:11], s[0:1], 0x0
	s_add_co_i32 s18, s12, -1
	s_add_co_i32 s3, s13, -1
	v_add_nc_u32_e32 v10, 0x8c, v3
	v_min_i32_e32 v0, s18, v4
	v_min_i32_e32 v1, s3, v5
	v_add_nc_u32_e32 v2, 0x440, v3
	s_mov_b32 s20, exec_lo
                                        ; implicit-def: $vgpr8
	s_delay_alu instid0(VALU_DEP_2)
	v_mad_u32 v0, v1, s14, v0
	s_wait_kmcnt 0x0
	global_load_b32 v1, v0, s[4:5] scale_offset
	s_wait_loadcnt 0x0
	flat_store_b32 v[10:11], v1 scope:SCOPE_SYS
	s_wait_storecnt 0x0
	global_load_b32 v7, v0, s[6:7] scale_offset
	s_wait_xcnt 0x1
	v_ashrrev_i32_e32 v1, 31, v0
	v_add_nc_u32_e32 v10, 0x4cc, v3
	s_wait_loadcnt 0x0
	flat_store_b32 v[10:11], v7 scope:SCOPE_SYS
	s_wait_storecnt 0x0
                                        ; implicit-def: $vgpr7
	s_wait_xcnt 0x0
	v_cmpx_lt_i32_e32 0, v9
	s_xor_b32 s20, exec_lo, s20
	s_cbranch_execnz .LBB0_7
; %bb.1:
	s_and_not1_saveexec_b32 s19, s20
	s_cbranch_execnz .LBB0_12
.LBB0_2:
	s_or_b32 exec_lo, exec_lo, s19
	s_and_saveexec_b32 s2, s21
	s_cbranch_execz .LBB0_4
.LBB0_3:
	global_load_b32 v6, v7, s[4:5] scale_offset
	s_mov_b64 s[18:19], src_shared_base
	s_delay_alu instid0(SALU_CYCLE_1)
	v_dual_mov_b32 v9, s19 :: v_dual_lshlrev_b32 v8, 2, v8
	s_wait_loadcnt 0x0
	flat_store_b32 v[8:9], v6 scope:SCOPE_SYS
	s_wait_storecnt 0x0
	global_load_b32 v6, v7, s[6:7] scale_offset
	v_add_nc_u32_e32 v8, 0x440, v8
	s_wait_loadcnt 0x0
	flat_store_b32 v[8:9], v6 scope:SCOPE_SYS
	s_wait_storecnt 0x0
.LBB0_4:
	s_wait_xcnt 0x0
	s_or_b32 exec_lo, exec_lo, s2
	v_cmp_gt_i32_e32 vcc_lo, s12, v4
	v_cmp_gt_i32_e64 s2, s13, v5
	s_wait_dscnt 0x0
	s_barrier_signal -1
	s_barrier_wait -1
	s_and_b32 s2, vcc_lo, s2
	s_delay_alu instid0(SALU_CYCLE_1)
	s_and_saveexec_b32 s3, s2
	s_cbranch_execz .LBB0_6
; %bb.5:
	s_mov_b64 s[2:3], src_shared_base
	s_delay_alu instid0(SALU_CYCLE_1)
	v_dual_mov_b32 v5, s3 :: v_dual_add_nc_u32 v4, 0x88, v3
	v_lshlrev_b64_e32 v[0:1], 2, v[0:1]
	s_load_b128 s[4:7], s[0:1], 0x38
	flat_load_b32 v7, v[4:5] scope:SCOPE_SYS
	s_wait_loadcnt 0x0
	s_wait_xcnt 0x0
	v_add_nc_u32_e32 v4, 0x90, v3
	flat_load_b32 v8, v[4:5] scope:SCOPE_SYS
	s_wait_loadcnt_dscnt 0x0
	v_dual_add_f32 v7, v7, v8 :: v_dual_add_nc_u32 v4, 0x114, v3
	flat_load_b32 v10, v[4:5] scope:SCOPE_SYS
	s_wait_loadcnt 0x0
	s_wait_xcnt 0x0
	v_add_nc_u32_e32 v4, 4, v3
	flat_load_b32 v11, v[4:5] scope:SCOPE_SYS
	s_wait_loadcnt 0x0
	s_wait_xcnt 0x0
	v_add_nc_u32_e32 v4, 0x88, v2
	flat_load_b32 v12, v[4:5] scope:SCOPE_SYS
	s_wait_loadcnt_dscnt 0x2
	v_add_f32_e32 v7, v7, v10
	s_wait_dscnt 0x1
	s_delay_alu instid0(VALU_DEP_1)
	v_dual_add_f32 v7, v7, v11 :: v_dual_add_nc_u32 v4, 0x90, v2
	flat_load_b32 v13, v[4:5] scope:SCOPE_SYS
	s_wait_loadcnt 0x0
	s_wait_xcnt 0x0
	v_add_nc_u32_e32 v4, 0x114, v2
	v_mul_f32_e32 v8, 0x3e800000, v7
	flat_load_b32 v14, v[4:5] scope:SCOPE_SYS
	s_wait_loadcnt 0x0
	s_wait_xcnt 0x0
	v_add_nc_u32_e32 v4, 4, v2
	v_add_nc_u64_e32 v[2:3], s[10:11], v[0:1]
	flat_load_b32 v15, v[4:5] scope:SCOPE_SYS
	s_wait_loadcnt 0x0
	s_wait_xcnt 0x0
	v_add_nc_u64_e32 v[4:5], s[8:9], v[0:1]
	global_load_b32 v6, v[2:3], off
	global_load_b32 v9, v[4:5], off
	s_wait_xcnt 0x0
	v_add_nc_u64_e32 v[4:5], s[16:17], v[0:1]
	global_load_b32 v4, v[4:5], off
	s_wait_dscnt 0x2
	s_wait_xcnt 0x0
	v_add_f32_e32 v5, v12, v13
	s_wait_dscnt 0x1
	s_delay_alu instid0(VALU_DEP_1) | instskip(SKIP_1) | instid1(VALU_DEP_1)
	v_add_f32_e32 v5, v5, v14
	s_wait_dscnt 0x0
	v_add_f32_e32 v5, v5, v15
	s_wait_loadcnt 0x2
	s_delay_alu instid0(VALU_DEP_1) | instskip(SKIP_2) | instid1(VALU_DEP_2)
	v_dual_mul_f32 v10, 0x3e800000, v5 :: v_dual_mov_b32 v11, v6
	s_wait_loadcnt 0x1
	v_dual_mov_b32 v12, v9 :: v_dual_mov_b32 v5, s15
	v_pk_mul_f32 v[6:7], v[6:7], v[10:11] op_sel_hi:[0,1]
	s_delay_alu instid0(VALU_DEP_1) | instskip(SKIP_1) | instid1(VALU_DEP_1)
	v_pk_fma_f32 v[6:7], v[8:9], v[12:13], v[6:7] op_sel_hi:[1,0,1]
	s_wait_loadcnt 0x0
	v_pk_add_f32 v[4:5], v[4:5], v[6:7]
	s_delay_alu instid0(VALU_DEP_1) | instskip(NEXT) | instid1(VALU_DEP_1)
	v_div_scale_f32 v6, null, v5, v5, v4
	v_rcp_f32_e32 v7, v6
	v_nop
	s_delay_alu instid0(TRANS32_DEP_1) | instskip(NEXT) | instid1(VALU_DEP_1)
	v_fma_f32 v11, -v6, v7, 1.0
	v_fmac_f32_e32 v7, v11, v7
	v_div_scale_f32 v11, vcc_lo, v4, v5, v4
	s_delay_alu instid0(VALU_DEP_1) | instskip(NEXT) | instid1(VALU_DEP_1)
	v_mul_f32_e32 v12, v11, v7
	v_fma_f32 v13, -v6, v12, v11
	s_delay_alu instid0(VALU_DEP_1) | instskip(NEXT) | instid1(VALU_DEP_1)
	v_fmac_f32_e32 v12, v13, v7
	v_fma_f32 v6, -v6, v12, v11
	s_delay_alu instid0(VALU_DEP_1) | instskip(NEXT) | instid1(VALU_DEP_1)
	v_div_fmas_f32 v6, v6, v7, v12
	v_div_fixup_f32 v6, v6, v5, v4
	s_wait_kmcnt 0x0
	v_add_nc_u64_e32 v[4:5], s[4:5], v[0:1]
	v_add_nc_u64_e32 v[0:1], s[6:7], v[0:1]
	s_delay_alu instid0(VALU_DEP_3)
	v_fma_f32 v7, -v9, v6, v8
	global_store_b32 v[4:5], v7, off
	global_load_b32 v2, v[2:3], off
	s_wait_loadcnt 0x0
	v_fma_f32 v2, -v2, v6, v10
	global_store_b32 v[0:1], v2, off
.LBB0_6:
	s_endpgm
.LBB0_7:
	s_mov_b32 s22, 0
	s_mov_b32 s21, exec_lo
                                        ; implicit-def: $vgpr8
                                        ; implicit-def: $vgpr7
	v_cmpx_eq_u32_e32 1, v9
	s_cbranch_execz .LBB0_11
; %bb.8:
	s_mov_b32 s23, exec_lo
                                        ; implicit-def: $vgpr8
                                        ; implicit-def: $vgpr7
	v_cmpx_gt_u32_e32 6, v6
	s_xor_b32 s23, exec_lo, s23
	s_cbranch_execz .LBB0_10
; %bb.9:
	v_add_nc_u32_e32 v7, s2, v6
	v_cvt_f64_i32_e32 v[10:11], s3
	s_mov_b64 s[24:25], src_shared_base
	s_max_i32 s26, s19, 1
	s_mov_b32 s27, 0
	v_cvt_f64_u32_e32 v[8:9], v7
	s_add_co_i32 s19, s19, 32
	s_mov_b32 s22, exec_lo
	s_min_i32 s19, s19, s18
	s_delay_alu instid0(VALU_DEP_1) | instskip(NEXT) | instid1(VALU_DEP_1)
	v_min_num_f64_e32 v[8:9], v[8:9], v[10:11]
	v_cvt_i32_f64_e32 v7, v[8:9]
	s_delay_alu instid0(VALU_DEP_1) | instskip(NEXT) | instid1(VALU_DEP_1)
	v_mul_lo_u32 v8, s14, v7
	v_ashrrev_i32_e32 v9, 31, v8
	s_delay_alu instid0(VALU_DEP_1) | instskip(SKIP_1) | instid1(VALU_DEP_1)
	v_add_nc_u64_e32 v[10:11], s[26:27], v[8:9]
	v_mul_u32_u24_e32 v9, 34, v6
	v_lshlrev_b32_e32 v9, 2, v9
	s_delay_alu instid0(VALU_DEP_3) | instskip(NEXT) | instid1(VALU_DEP_1)
	v_lshlrev_b64_e32 v[10:11], 2, v[10:11]
	v_add_nc_u64_e32 v[12:13], s[4:5], v[10:11]
	v_add_nc_u64_e32 v[10:11], s[6:7], v[10:11]
	global_load_b32 v7, v[12:13], off offset:-4
	s_wait_xcnt 0x0
	v_dual_mov_b32 v13, s25 :: v_dual_add_nc_u32 v12, 0x88, v9
	s_wait_loadcnt 0x0
	flat_store_b32 v[12:13], v7 scope:SCOPE_SYS
	s_wait_storecnt 0x0
	global_load_b32 v10, v[10:11], off offset:-4
	s_wait_xcnt 0x1
	v_add_nc_u32_e32 v7, s19, v8
	v_add_nc_u32_e32 v12, 0x4c8, v9
	v_mad_u32_u24 v8, v6, 34, 0x43
	s_wait_loadcnt 0x0
	flat_store_b32 v[12:13], v10 scope:SCOPE_SYS
	s_wait_storecnt 0x0
.LBB0_10:
	s_wait_xcnt 0x0
	s_or_b32 exec_lo, exec_lo, s23
	s_delay_alu instid0(SALU_CYCLE_1)
	s_and_b32 s22, s22, exec_lo
.LBB0_11:
	s_or_b32 exec_lo, exec_lo, s21
	s_delay_alu instid0(SALU_CYCLE_1)
	s_and_b32 s21, s22, exec_lo
                                        ; implicit-def: $vgpr6
	s_and_not1_saveexec_b32 s19, s20
	s_cbranch_execz .LBB0_2
.LBB0_12:
	v_cvt_f64_u32_e32 v[8:9], v4
	v_cvt_f64_i32_e32 v[10:11], s18
	s_mov_b64 s[22:23], src_shared_base
	v_lshlrev_b32_e32 v12, 2, v6
	s_max_i32 s18, s2, 1
	s_add_co_i32 s2, s2, 6
	s_add_co_i32 s18, s18, -1
	s_min_i32 s2, s2, s3
	s_or_b32 s21, s21, exec_lo
	s_delay_alu instid0(VALU_DEP_2) | instskip(SKIP_1) | instid1(VALU_DEP_2)
	v_dual_min_num_f64 v[8:9], v[8:9], v[10:11] :: v_dual_mov_b32 v11, s23
	v_add_nc_u32_e32 v10, 4, v12
	v_cvt_i32_f64_e32 v7, v[8:9]
	s_delay_alu instid0(VALU_DEP_1)
	v_mad_u32 v8, s18, s14, v7
	v_mad_u32 v7, s2, s14, v7
	global_load_b32 v9, v8, s[4:5] scale_offset
	s_wait_loadcnt 0x0
	flat_store_b32 v[10:11], v9 scope:SCOPE_SYS
	s_wait_storecnt 0x0
	global_load_b32 v9, v8, s[6:7] scale_offset
	v_add_nc_u32_e32 v10, 0x444, v12
	s_wait_xcnt 0x0
	v_add_nc_u32_e32 v8, 0xef, v6
	s_wait_loadcnt 0x0
	flat_store_b32 v[10:11], v9 scope:SCOPE_SYS
	s_wait_storecnt 0x0
	s_wait_xcnt 0x0
	s_or_b32 exec_lo, exec_lo, s19
	s_and_saveexec_b32 s2, s21
	s_cbranch_execnz .LBB0_3
	s_branch .LBB0_4
	.section	.rodata,"a",@progbits
	.p2align	6, 0x0
	.amdhsa_kernel _Z15JacobiIterationILi32ELi6EEvPKfS1_S1_S1_S1_iiifPfS2_
		.amdhsa_group_segment_fixed_size 2176
		.amdhsa_private_segment_fixed_size 0
		.amdhsa_kernarg_size 328
		.amdhsa_user_sgpr_count 2
		.amdhsa_user_sgpr_dispatch_ptr 0
		.amdhsa_user_sgpr_queue_ptr 0
		.amdhsa_user_sgpr_kernarg_segment_ptr 1
		.amdhsa_user_sgpr_dispatch_id 0
		.amdhsa_user_sgpr_kernarg_preload_length 0
		.amdhsa_user_sgpr_kernarg_preload_offset 0
		.amdhsa_user_sgpr_private_segment_size 0
		.amdhsa_wavefront_size32 1
		.amdhsa_uses_dynamic_stack 0
		.amdhsa_enable_private_segment 0
		.amdhsa_system_sgpr_workgroup_id_x 1
		.amdhsa_system_sgpr_workgroup_id_y 1
		.amdhsa_system_sgpr_workgroup_id_z 0
		.amdhsa_system_sgpr_workgroup_info 0
		.amdhsa_system_vgpr_workitem_id 1
		.amdhsa_next_free_vgpr 16
		.amdhsa_next_free_sgpr 28
		.amdhsa_named_barrier_count 0
		.amdhsa_reserve_vcc 1
		.amdhsa_float_round_mode_32 0
		.amdhsa_float_round_mode_16_64 0
		.amdhsa_float_denorm_mode_32 3
		.amdhsa_float_denorm_mode_16_64 3
		.amdhsa_fp16_overflow 0
		.amdhsa_memory_ordered 1
		.amdhsa_forward_progress 1
		.amdhsa_inst_pref_size 12
		.amdhsa_round_robin_scheduling 0
		.amdhsa_exception_fp_ieee_invalid_op 0
		.amdhsa_exception_fp_denorm_src 0
		.amdhsa_exception_fp_ieee_div_zero 0
		.amdhsa_exception_fp_ieee_overflow 0
		.amdhsa_exception_fp_ieee_underflow 0
		.amdhsa_exception_fp_ieee_inexact 0
		.amdhsa_exception_int_div_zero 0
	.end_amdhsa_kernel
	.section	.text._Z15JacobiIterationILi32ELi6EEvPKfS1_S1_S1_S1_iiifPfS2_,"axG",@progbits,_Z15JacobiIterationILi32ELi6EEvPKfS1_S1_S1_S1_iiifPfS2_,comdat
.Lfunc_end0:
	.size	_Z15JacobiIterationILi32ELi6EEvPKfS1_S1_S1_S1_iiifPfS2_, .Lfunc_end0-_Z15JacobiIterationILi32ELi6EEvPKfS1_S1_S1_S1_iiifPfS2_
                                        ; -- End function
	.set _Z15JacobiIterationILi32ELi6EEvPKfS1_S1_S1_S1_iiifPfS2_.num_vgpr, 16
	.set _Z15JacobiIterationILi32ELi6EEvPKfS1_S1_S1_S1_iiifPfS2_.num_agpr, 0
	.set _Z15JacobiIterationILi32ELi6EEvPKfS1_S1_S1_S1_iiifPfS2_.numbered_sgpr, 28
	.set _Z15JacobiIterationILi32ELi6EEvPKfS1_S1_S1_S1_iiifPfS2_.num_named_barrier, 0
	.set _Z15JacobiIterationILi32ELi6EEvPKfS1_S1_S1_S1_iiifPfS2_.private_seg_size, 0
	.set _Z15JacobiIterationILi32ELi6EEvPKfS1_S1_S1_S1_iiifPfS2_.uses_vcc, 1
	.set _Z15JacobiIterationILi32ELi6EEvPKfS1_S1_S1_S1_iiifPfS2_.uses_flat_scratch, 0
	.set _Z15JacobiIterationILi32ELi6EEvPKfS1_S1_S1_S1_iiifPfS2_.has_dyn_sized_stack, 0
	.set _Z15JacobiIterationILi32ELi6EEvPKfS1_S1_S1_S1_iiifPfS2_.has_recursion, 0
	.set _Z15JacobiIterationILi32ELi6EEvPKfS1_S1_S1_S1_iiifPfS2_.has_indirect_call, 0
	.section	.AMDGPU.csdata,"",@progbits
; Kernel info:
; codeLenInByte = 1524
; TotalNumSgprs: 30
; NumVgprs: 16
; ScratchSize: 0
; MemoryBound: 0
; FloatMode: 240
; IeeeMode: 1
; LDSByteSize: 2176 bytes/workgroup (compile time only)
; SGPRBlocks: 0
; VGPRBlocks: 0
; NumSGPRsForWavesPerEU: 30
; NumVGPRsForWavesPerEU: 16
; NamedBarCnt: 0
; Occupancy: 16
; WaveLimiterHint : 0
; COMPUTE_PGM_RSRC2:SCRATCH_EN: 0
; COMPUTE_PGM_RSRC2:USER_SGPR: 2
; COMPUTE_PGM_RSRC2:TRAP_HANDLER: 0
; COMPUTE_PGM_RSRC2:TGID_X_EN: 1
; COMPUTE_PGM_RSRC2:TGID_Y_EN: 1
; COMPUTE_PGM_RSRC2:TGID_Z_EN: 0
; COMPUTE_PGM_RSRC2:TIDIG_COMP_CNT: 1
	.section	.AMDGPU.gpr_maximums,"",@progbits
	.set amdgpu.max_num_vgpr, 0
	.set amdgpu.max_num_agpr, 0
	.set amdgpu.max_num_sgpr, 0
	.section	.AMDGPU.csdata,"",@progbits
	.type	__hip_cuid_2e7195d62e2b1669,@object ; @__hip_cuid_2e7195d62e2b1669
	.section	.bss,"aw",@nobits
	.globl	__hip_cuid_2e7195d62e2b1669
__hip_cuid_2e7195d62e2b1669:
	.byte	0                               ; 0x0
	.size	__hip_cuid_2e7195d62e2b1669, 1

	.ident	"AMD clang version 22.0.0git (https://github.com/RadeonOpenCompute/llvm-project roc-7.2.4 26084 f58b06dce1f9c15707c5f808fd002e18c2accf7e)"
	.section	".note.GNU-stack","",@progbits
	.addrsig
	.addrsig_sym __hip_cuid_2e7195d62e2b1669
	.amdgpu_metadata
---
amdhsa.kernels:
  - .args:
      - .address_space:  global
        .offset:         0
        .size:           8
        .value_kind:     global_buffer
      - .address_space:  global
        .offset:         8
        .size:           8
        .value_kind:     global_buffer
      - .address_space:  global
        .offset:         16
        .size:           8
        .value_kind:     global_buffer
      - .address_space:  global
        .offset:         24
        .size:           8
        .value_kind:     global_buffer
      - .address_space:  global
        .offset:         32
        .size:           8
        .value_kind:     global_buffer
      - .offset:         40
        .size:           4
        .value_kind:     by_value
      - .offset:         44
        .size:           4
        .value_kind:     by_value
      - .offset:         48
        .size:           4
        .value_kind:     by_value
      - .offset:         52
        .size:           4
        .value_kind:     by_value
      - .address_space:  global
        .offset:         56
        .size:           8
        .value_kind:     global_buffer
      - .address_space:  global
        .offset:         64
        .size:           8
        .value_kind:     global_buffer
      - .offset:         72
        .size:           4
        .value_kind:     hidden_block_count_x
      - .offset:         76
        .size:           4
        .value_kind:     hidden_block_count_y
      - .offset:         80
        .size:           4
        .value_kind:     hidden_block_count_z
      - .offset:         84
        .size:           2
        .value_kind:     hidden_group_size_x
      - .offset:         86
        .size:           2
        .value_kind:     hidden_group_size_y
      - .offset:         88
        .size:           2
        .value_kind:     hidden_group_size_z
      - .offset:         90
        .size:           2
        .value_kind:     hidden_remainder_x
      - .offset:         92
        .size:           2
        .value_kind:     hidden_remainder_y
      - .offset:         94
        .size:           2
        .value_kind:     hidden_remainder_z
      - .offset:         112
        .size:           8
        .value_kind:     hidden_global_offset_x
      - .offset:         120
        .size:           8
        .value_kind:     hidden_global_offset_y
      - .offset:         128
        .size:           8
        .value_kind:     hidden_global_offset_z
      - .offset:         136
        .size:           2
        .value_kind:     hidden_grid_dims
    .group_segment_fixed_size: 2176
    .kernarg_segment_align: 8
    .kernarg_segment_size: 328
    .language:       OpenCL C
    .language_version:
      - 2
      - 0
    .max_flat_workgroup_size: 1024
    .name:           _Z15JacobiIterationILi32ELi6EEvPKfS1_S1_S1_S1_iiifPfS2_
    .private_segment_fixed_size: 0
    .sgpr_count:     30
    .sgpr_spill_count: 0
    .symbol:         _Z15JacobiIterationILi32ELi6EEvPKfS1_S1_S1_S1_iiifPfS2_.kd
    .uniform_work_group_size: 1
    .uses_dynamic_stack: false
    .vgpr_count:     16
    .vgpr_spill_count: 0
    .wavefront_size: 32
amdhsa.target:   amdgcn-amd-amdhsa--gfx1250
amdhsa.version:
  - 1
  - 2
...

	.end_amdgpu_metadata
